;; amdgpu-corpus repo=ROCm/rocFFT kind=compiled arch=gfx906 opt=O3
	.text
	.amdgcn_target "amdgcn-amd-amdhsa--gfx906"
	.amdhsa_code_object_version 6
	.protected	fft_rtc_back_len96_factors_4_2_3_4_wgs_128_tpt_8_halfLds_dim2_dp_op_CI_CI_sbcc_twdbase8_2step_dirReg_intrinsicReadWrite ; -- Begin function fft_rtc_back_len96_factors_4_2_3_4_wgs_128_tpt_8_halfLds_dim2_dp_op_CI_CI_sbcc_twdbase8_2step_dirReg_intrinsicReadWrite
	.globl	fft_rtc_back_len96_factors_4_2_3_4_wgs_128_tpt_8_halfLds_dim2_dp_op_CI_CI_sbcc_twdbase8_2step_dirReg_intrinsicReadWrite
	.p2align	8
	.type	fft_rtc_back_len96_factors_4_2_3_4_wgs_128_tpt_8_halfLds_dim2_dp_op_CI_CI_sbcc_twdbase8_2step_dirReg_intrinsicReadWrite,@function
fft_rtc_back_len96_factors_4_2_3_4_wgs_128_tpt_8_halfLds_dim2_dp_op_CI_CI_sbcc_twdbase8_2step_dirReg_intrinsicReadWrite: ; @fft_rtc_back_len96_factors_4_2_3_4_wgs_128_tpt_8_halfLds_dim2_dp_op_CI_CI_sbcc_twdbase8_2step_dirReg_intrinsicReadWrite
; %bb.0:
	s_load_dwordx4 s[0:3], s[4:5], 0x10
	s_load_dwordx2 s[22:23], s[4:5], 0x20
	s_mov_b32 s7, 0
	s_waitcnt lgkmcnt(0)
	s_load_dwordx2 s[20:21], s[0:1], 0x8
	s_load_dwordx2 s[16:17], s[4:5], 0x0
	s_load_dwordx4 s[8:11], s[4:5], 0x58
	s_load_dwordx2 s[18:19], s[2:3], 0x0
	s_load_dwordx2 s[12:13], s[22:23], 0x0
	s_waitcnt lgkmcnt(0)
	s_add_u32 s0, s20, -1
	s_addc_u32 s1, s21, -1
	s_lshr_b64 s[0:1], s[0:1], 4
	s_add_u32 s24, s0, 1
	s_addc_u32 s25, s1, 0
	v_mov_b32_e32 v1, s24
	v_mov_b32_e32 v2, s25
	v_cmp_lt_u64_e32 vcc, s[6:7], v[1:2]
	s_mov_b64 s[0:1], 0
	s_cbranch_vccnz .LBB0_2
; %bb.1:
	v_cvt_f32_u32_e32 v1, s24
	s_sub_i32 s0, 0, s24
	v_rcp_iflag_f32_e32 v1, v1
	v_mul_f32_e32 v1, 0x4f7ffffe, v1
	v_cvt_u32_f32_e32 v1, v1
	v_readfirstlane_b32 s1, v1
	s_mul_i32 s0, s0, s1
	s_mul_hi_u32 s0, s1, s0
	s_add_i32 s1, s1, s0
	s_mul_hi_u32 s0, s6, s1
	s_mul_i32 s7, s0, s24
	s_sub_i32 s7, s6, s7
	s_add_i32 s1, s0, 1
	s_sub_i32 s13, s7, s24
	s_cmp_ge_u32 s7, s24
	s_cselect_b32 s0, s1, s0
	s_cselect_b32 s7, s13, s7
	s_add_i32 s1, s0, 1
	s_cmp_ge_u32 s7, s24
	s_cselect_b32 s0, s1, s0
.LBB0_2:
	s_load_dwordx2 s[14:15], s[4:5], 0x8
	s_mul_i32 s1, s0, s25
	s_mul_hi_u32 s4, s0, s24
	s_add_i32 s1, s4, s1
	s_mul_i32 s4, s0, s24
	s_sub_u32 s4, s6, s4
	s_subb_u32 s5, 0, s1
	s_lshl_b64 s[28:29], s[4:5], 4
	s_load_dwordx4 s[24:27], s[2:3], 0x8
	s_load_dwordx4 s[4:7], s[22:23], 0x8
	v_and_b32_e32 v51, 15, v0
	v_mov_b32_e32 v1, s20
	v_or_b32_e32 v44, s28, v51
	s_waitcnt lgkmcnt(0)
	s_mul_i32 s1, s28, s24
	s_mul_i32 s2, s4, s28
	;; [unrolled: 1-line block ×4, first 2 shown]
	s_add_i32 s3, s3, s1
	s_add_i32 s13, s13, s2
	s_add_u32 s0, s28, 16
	v_mov_b32_e32 v45, s29
	s_addc_u32 s1, s29, 0
	v_mov_b32_e32 v2, s21
	v_lshrrev_b32_e32 v52, 4, v0
	v_cmp_le_u64_e32 vcc, s[0:1], v[1:2]
	v_cmp_gt_u64_e64 s[0:1], s[20:21], v[44:45]
	v_or_b32_e32 v54, 24, v52
	v_or_b32_e32 v45, 64, v52
	v_mul_lo_u32 v5, s24, v51
	v_mul_lo_u32 v6, s18, v54
	;; [unrolled: 1-line block ×3, first 2 shown]
	s_or_b64 vcc, vcc, s[0:1]
	s_lshl_b32 s7, s3, 4
	v_add_lshl_u32 v6, v5, v6, 4
	v_add_lshl_u32 v45, v5, v45, 4
	s_mov_b32 s3, 0x20000
	s_mov_b32 s2, -2
	s_mov_b32 s0, s8
	s_mov_b32 s1, s9
	v_cndmask_b32_e32 v6, -1, v6, vcc
	v_or_b32_e32 v53, 48, v52
	v_cndmask_b32_e32 v45, -1, v45, vcc
	buffer_load_dwordx4 v[8:11], v6, s[0:3], s7 offen
	v_or_b32_e32 v56, 0x48, v52
	buffer_load_dwordx4 v[45:48], v45, s[0:3], s7 offen
	v_mul_lo_u32 v6, s18, v53
	v_mul_lo_u32 v1, s18, v52
	v_or_b32_e32 v57, 8, v52
	v_or_b32_e32 v55, 16, v52
	v_add_lshl_u32 v6, v5, v6, 4
	v_cndmask_b32_e32 v6, -1, v6, vcc
	buffer_load_dwordx4 v[12:15], v6, s[0:3], s7 offen
	v_mul_lo_u32 v6, s18, v56
	v_add_lshl_u32 v1, v5, v1, 4
	v_cndmask_b32_e32 v1, -1, v1, vcc
	buffer_load_dwordx4 v[1:4], v1, s[0:3], s7 offen
	v_add_lshl_u32 v6, v5, v6, 4
	v_cndmask_b32_e32 v6, -1, v6, vcc
	buffer_load_dwordx4 v[16:19], v6, s[0:3], s7 offen
	v_mul_lo_u32 v6, s18, v57
	v_or_b32_e32 v49, 0x58, v52
	v_mul_lo_u32 v49, s18, v49
	v_bfe_u32 v71, v0, 4, 2
	v_add_lshl_u32 v6, v5, v6, 4
	v_cndmask_b32_e32 v6, -1, v6, vcc
	buffer_load_dwordx4 v[20:23], v6, s[0:3], s7 offen
	v_or_b32_e32 v6, 32, v52
	v_mul_lo_u32 v7, s18, v6
	v_lshrrev_b32_e32 v0, 3, v0
	v_and_or_b32 v0, v0, 8, v71
	v_lshlrev_b32_e32 v0, 7, v0
	v_add_lshl_u32 v7, v5, v7, 4
	v_cndmask_b32_e32 v7, -1, v7, vcc
	buffer_load_dwordx4 v[24:27], v7, s[0:3], s7 offen
	v_or_b32_e32 v7, 56, v52
	v_mul_lo_u32 v7, s18, v7
	s_movk_i32 s5, 0x48
	s_movk_i32 s6, 0x58
	v_add_lshl_u32 v7, v5, v7, 4
	v_cndmask_b32_e32 v7, -1, v7, vcc
	buffer_load_dwordx4 v[28:31], v7, s[0:3], s7 offen
	v_or_b32_e32 v7, 0x50, v52
	v_mul_lo_u32 v7, s18, v7
	v_add_lshl_u32 v7, v5, v7, 4
	v_cndmask_b32_e32 v7, -1, v7, vcc
	buffer_load_dwordx4 v[32:35], v7, s[0:3], s7 offen
	v_mul_lo_u32 v7, s18, v55
	v_add_lshl_u32 v7, v5, v7, 4
	v_cndmask_b32_e32 v7, -1, v7, vcc
	buffer_load_dwordx4 v[36:39], v7, s[0:3], s7 offen
	v_or_b32_e32 v7, 40, v52
	v_mul_lo_u32 v40, s18, v7
	v_add_lshl_u32 v40, v5, v40, 4
	v_add_lshl_u32 v5, v5, v49, 4
	v_cndmask_b32_e32 v40, -1, v40, vcc
	v_cndmask_b32_e32 v5, -1, v5, vcc
	buffer_load_dwordx4 v[58:61], v5, s[0:3], s7 offen
	s_waitcnt vmcnt(7)
	v_add_f64 v[12:13], v[1:2], -v[12:13]
	buffer_load_dwordx4 v[40:43], v40, s[0:3], s7 offen
	v_add_f64 v[14:15], v[3:4], -v[14:15]
	s_waitcnt vmcnt(7)
	v_add_f64 v[16:17], v[8:9], -v[16:17]
	v_add_f64 v[18:19], v[10:11], -v[18:19]
	s_movk_i32 s0, 0xfe80
	s_mov_b32 s7, 0x3febb67a
	v_fma_f64 v[1:2], v[1:2], 2.0, -v[12:13]
	v_fma_f64 v[3:4], v[3:4], 2.0, -v[14:15]
	;; [unrolled: 1-line block ×4, first 2 shown]
	v_add_f64 v[64:65], v[14:15], -v[16:17]
	v_add_f64 v[8:9], v[1:2], -v[8:9]
	;; [unrolled: 1-line block ×3, first 2 shown]
	v_fma_f64 v[66:67], v[14:15], 2.0, -v[64:65]
	s_waitcnt vmcnt(4)
	v_add_f64 v[14:15], v[22:23], -v[30:31]
	v_fma_f64 v[10:11], v[1:2], 2.0, -v[8:9]
	v_fma_f64 v[62:63], v[3:4], 2.0, -v[49:50]
	v_add_f64 v[2:3], v[12:13], v[18:19]
	v_lshlrev_b32_e32 v1, 3, v51
	v_add3_u32 v0, 0, v0, v1
	v_fma_f64 v[18:19], v[22:23], 2.0, -v[14:15]
	s_waitcnt vmcnt(3)
	v_add_f64 v[22:23], v[26:27], -v[34:35]
	v_fma_f64 v[4:5], v[12:13], 2.0, -v[2:3]
	v_add_f64 v[12:13], v[20:21], -v[28:29]
	s_waitcnt vmcnt(2)
	v_add_f64 v[30:31], v[38:39], -v[47:48]
	v_fma_f64 v[26:27], v[26:27], 2.0, -v[22:23]
	v_fma_f64 v[16:17], v[20:21], 2.0, -v[12:13]
	v_add_f64 v[20:21], v[24:25], -v[32:33]
	v_fma_f64 v[34:35], v[38:39], 2.0, -v[30:31]
	v_add_f64 v[26:27], v[18:19], -v[26:27]
	;; [unrolled: 2-line block ×3, first 2 shown]
	v_fma_f64 v[28:29], v[18:19], 2.0, -v[26:27]
	v_add_f64 v[18:19], v[12:13], v[22:23]
	v_add_f64 v[24:25], v[16:17], -v[24:25]
	v_fma_f64 v[22:23], v[14:15], 2.0, -v[20:21]
	v_add_f64 v[14:15], v[36:37], -v[45:46]
	v_lshlrev_b32_e32 v45, 9, v52
	v_add3_u32 v68, 0, v45, v1
	v_fma_f64 v[12:13], v[12:13], 2.0, -v[18:19]
	ds_write2_b64 v68, v[10:11], v[4:5] offset1:16
	ds_write2_b64 v68, v[8:9], v[2:3] offset0:32 offset1:48
	v_lshlrev_b32_e32 v2, 9, v57
	v_fma_f64 v[16:17], v[16:17], 2.0, -v[24:25]
	v_add3_u32 v69, 0, v2, v1
	v_fma_f64 v[32:33], v[36:37], 2.0, -v[14:15]
	ds_write2_b64 v69, v[16:17], v[12:13] offset1:16
	ds_write2_b64 v69, v[24:25], v[18:19] offset0:32 offset1:48
	v_lshlrev_b32_e32 v2, 9, v55
	s_waitcnt vmcnt(0)
	v_add_f64 v[36:37], v[40:41], -v[58:59]
	v_add_f64 v[38:39], v[42:43], -v[60:61]
	v_lshlrev_b32_e32 v25, 7, v6
	v_add3_u32 v24, 0, v2, v1
	v_lshlrev_b32_e32 v5, 7, v54
	v_add3_u32 v70, 0, v25, v1
	v_lshlrev_b32_e32 v25, 7, v7
	v_mad_i32_i24 v2, v52, s0, v68
	v_fma_f64 v[40:41], v[40:41], 2.0, -v[36:37]
	v_fma_f64 v[42:43], v[42:43], 2.0, -v[38:39]
	v_add_f64 v[38:39], v[14:15], v[38:39]
	v_add_f64 v[36:37], v[30:31], -v[36:37]
	v_mad_i32_i24 v3, v57, s0, v69
	v_mad_i32_i24 v4, v55, s0, v24
	v_add3_u32 v5, 0, v5, v1
	v_lshlrev_b32_e32 v6, 1, v6
	v_add_f64 v[40:41], v[32:33], -v[40:41]
	v_add_f64 v[42:43], v[34:35], -v[42:43]
	v_fma_f64 v[14:15], v[14:15], 2.0, -v[38:39]
	v_fma_f64 v[30:31], v[30:31], 2.0, -v[36:37]
	v_and_or_b32 v6, v6, s5, v71
	v_lshlrev_b32_e32 v6, 7, v6
	s_mov_b32 s0, 0xe8584caa
	s_mov_b32 s1, 0xbfebb67a
	v_fma_f64 v[32:33], v[32:33], 2.0, -v[40:41]
	v_fma_f64 v[34:35], v[34:35], 2.0, -v[42:43]
	ds_write2_b64 v24, v[32:33], v[14:15] offset1:16
	ds_write2_b64 v24, v[40:41], v[38:39] offset0:32 offset1:48
	v_add3_u32 v32, 0, v25, v1
	s_waitcnt lgkmcnt(0)
	s_barrier
	ds_read2st64_b64 v[8:11], v2 offset1:12
	ds_read_b64 v[38:39], v3
	ds_read2st64_b64 v[12:15], v2 offset0:14 offset1:16
	ds_read_b64 v[40:41], v4
	ds_read_b64 v[45:46], v5
	ds_read2st64_b64 v[16:19], v2 offset0:18 offset1:20
	ds_read_b64 v[47:48], v70
	ds_read_b64 v[58:59], v32
	ds_read_b64 v[60:61], v2 offset:11264
	s_waitcnt lgkmcnt(0)
	s_barrier
	ds_write2_b64 v68, v[62:63], v[66:67] offset1:16
	ds_write2_b64 v68, v[49:50], v[64:65] offset0:32 offset1:48
	ds_write2_b64 v69, v[28:29], v[22:23] offset1:16
	ds_write2_b64 v69, v[26:27], v[20:21] offset0:32 offset1:48
	;; [unrolled: 2-line block ×3, first 2 shown]
	s_waitcnt lgkmcnt(0)
	s_barrier
	ds_read2st64_b64 v[20:23], v2 offset1:12
	ds_read_b64 v[36:37], v3
	ds_read2st64_b64 v[24:27], v2 offset0:14 offset1:16
	ds_read_b64 v[42:43], v4
	ds_read_b64 v[49:50], v5
	ds_read2st64_b64 v[28:31], v2 offset0:18 offset1:20
	ds_read_b64 v[62:63], v70
	ds_read_b64 v[64:65], v32
	ds_read_b64 v[66:67], v2 offset:11264
	v_lshlrev_b32_e32 v32, 4, v71
	global_load_dwordx4 v[32:35], v32, s[16:17]
	s_waitcnt vmcnt(0) lgkmcnt(0)
	s_barrier
	v_mul_f64 v[68:69], v[22:23], v[34:35]
	v_fma_f64 v[68:69], v[10:11], v[32:33], v[68:69]
	v_mul_f64 v[10:11], v[10:11], v[34:35]
	v_fma_f64 v[10:11], v[22:23], v[32:33], -v[10:11]
	v_mul_f64 v[22:23], v[24:25], v[34:35]
	v_fma_f64 v[22:23], v[12:13], v[32:33], v[22:23]
	v_mul_f64 v[12:13], v[12:13], v[34:35]
	v_fma_f64 v[12:13], v[24:25], v[32:33], -v[12:13]
	;; [unrolled: 4-line block ×3, first 2 shown]
	v_mul_f64 v[26:27], v[28:29], v[34:35]
	v_fma_f64 v[26:27], v[16:17], v[32:33], v[26:27]
	v_mul_f64 v[16:17], v[16:17], v[34:35]
	v_add_f64 v[26:27], v[45:46], -v[26:27]
	v_fma_f64 v[16:17], v[28:29], v[32:33], -v[16:17]
	v_mul_f64 v[28:29], v[30:31], v[34:35]
	v_fma_f64 v[28:29], v[18:19], v[32:33], v[28:29]
	v_mul_f64 v[18:19], v[18:19], v[34:35]
	v_add_f64 v[28:29], v[47:48], -v[28:29]
	v_fma_f64 v[18:19], v[30:31], v[32:33], -v[18:19]
	v_mul_f64 v[30:31], v[66:67], v[34:35]
	v_mul_f64 v[34:35], v[60:61], v[34:35]
	v_fma_f64 v[30:31], v[60:61], v[32:33], v[30:31]
	v_add_f64 v[60:61], v[20:21], -v[10:11]
	v_fma_f64 v[32:33], v[66:67], v[32:33], -v[34:35]
	v_add_f64 v[34:35], v[8:9], -v[68:69]
	v_add_f64 v[10:11], v[38:39], -v[22:23]
	;; [unrolled: 1-line block ×4, first 2 shown]
	v_fma_f64 v[66:67], v[20:21], 2.0, -v[60:61]
	v_add_f64 v[20:21], v[40:41], -v[24:25]
	v_fma_f64 v[8:9], v[8:9], 2.0, -v[34:35]
	v_add_f64 v[24:25], v[42:43], -v[14:15]
	;; [unrolled: 2-line block ×3, first 2 shown]
	v_fma_f64 v[36:37], v[36:37], 2.0, -v[22:23]
	v_fma_f64 v[14:15], v[40:41], 2.0, -v[20:21]
	v_add_f64 v[40:41], v[49:50], -v[16:17]
	ds_write2st64_b64 v0, v[8:9], v[34:35] offset1:1
	v_lshlrev_b32_e32 v8, 1, v57
	v_and_or_b32 v8, v8, 24, v71
	v_fma_f64 v[16:17], v[45:46], 2.0, -v[26:27]
	v_add_f64 v[45:46], v[62:63], -v[18:19]
	v_lshlrev_b32_e32 v8, 7, v8
	v_add3_u32 v34, 0, v8, v1
	v_lshlrev_b32_e32 v8, 1, v55
	v_and_or_b32 v8, v8, 40, v71
	v_lshlrev_b32_e32 v8, 7, v8
	v_fma_f64 v[38:39], v[42:43], 2.0, -v[24:25]
	v_fma_f64 v[42:43], v[49:50], 2.0, -v[40:41]
	;; [unrolled: 1-line block ×4, first 2 shown]
	v_add3_u32 v35, 0, v8, v1
	v_lshlrev_b32_e32 v8, 1, v54
	v_and_or_b32 v8, v8, 56, v71
	v_lshlrev_b32_e32 v8, 7, v8
	v_add3_u32 v72, 0, v8, v1
	v_fma_f64 v[47:48], v[62:63], 2.0, -v[45:46]
	ds_write2st64_b64 v34, v[12:13], v[10:11] offset1:1
	ds_write2st64_b64 v35, v[14:15], v[20:21] offset1:1
	;; [unrolled: 1-line block ×3, first 2 shown]
	v_add3_u32 v26, 0, v6, v1
	v_lshlrev_b32_e32 v6, 1, v7
	v_fma_f64 v[58:59], v[64:65], 2.0, -v[32:33]
	v_and_or_b32 v6, v6, s6, v71
	v_lshlrev_b32_e32 v6, 7, v6
	v_add3_u32 v27, 0, v6, v1
	ds_write2st64_b64 v26, v[18:19], v[28:29] offset1:1
	ds_write2st64_b64 v27, v[49:50], v[30:31] offset1:1
	s_waitcnt lgkmcnt(0)
	s_barrier
	ds_read2st64_b64 v[6:9], v2 offset1:10
	ds_read_b64 v[49:50], v70
	ds_read2st64_b64 v[10:13], v2 offset0:16 offset1:18
	ds_read_b64 v[62:63], v3
	ds_read_b64 v[64:65], v4
	ds_read2st64_b64 v[14:17], v2 offset0:12 offset1:14
	ds_read2st64_b64 v[18:21], v2 offset0:20 offset1:22
	ds_read_b64 v[68:69], v5
	s_waitcnt lgkmcnt(0)
	s_barrier
	ds_write2st64_b64 v0, v[66:67], v[60:61] offset1:1
	ds_write2st64_b64 v34, v[36:37], v[22:23] offset1:1
	ds_write2st64_b64 v35, v[38:39], v[24:25] offset1:1
	ds_write2st64_b64 v72, v[42:43], v[40:41] offset1:1
	ds_write2st64_b64 v26, v[47:48], v[45:46] offset1:1
	ds_write2st64_b64 v27, v[58:59], v[32:33] offset1:1
	v_lshlrev_b32_e32 v0, 5, v52
	s_waitcnt lgkmcnt(0)
	s_barrier
	ds_read2st64_b64 v[22:25], v2 offset1:10
	ds_read_b64 v[42:43], v70
	ds_read2st64_b64 v[26:29], v2 offset0:16 offset1:18
	ds_read_b64 v[58:59], v3
	ds_read_b64 v[60:61], v4
	ds_read2st64_b64 v[30:33], v2 offset0:12 offset1:14
	ds_read2st64_b64 v[34:37], v2 offset0:20 offset1:22
	ds_read_b64 v[66:67], v5
	global_load_dwordx4 v[38:41], v0, s[16:17] offset:80
	global_load_dwordx4 v[45:48], v0, s[16:17] offset:64
	s_mov_b32 s6, s0
	v_lshlrev_b32_e32 v0, 7, v52
	v_add3_u32 v0, 0, v0, v1
	s_waitcnt vmcnt(0) lgkmcnt(0)
	s_barrier
	v_mul_f64 v[70:71], v[42:43], v[47:48]
	v_fma_f64 v[70:71], v[49:50], v[45:46], v[70:71]
	v_mul_f64 v[49:50], v[49:50], v[47:48]
	v_fma_f64 v[42:43], v[42:43], v[45:46], -v[49:50]
	v_mul_f64 v[49:50], v[26:27], v[40:41]
	v_fma_f64 v[49:50], v[10:11], v[38:39], v[49:50]
	v_mul_f64 v[10:11], v[10:11], v[40:41]
	v_fma_f64 v[10:11], v[26:27], v[38:39], -v[10:11]
	v_mul_f64 v[26:27], v[24:25], v[47:48]
	v_fma_f64 v[26:27], v[8:9], v[45:46], v[26:27]
	v_mul_f64 v[8:9], v[8:9], v[47:48]
	v_fma_f64 v[8:9], v[24:25], v[45:46], -v[8:9]
	v_mul_f64 v[24:25], v[28:29], v[40:41]
	v_fma_f64 v[24:25], v[12:13], v[38:39], v[24:25]
	v_mul_f64 v[12:13], v[12:13], v[40:41]
	v_fma_f64 v[12:13], v[28:29], v[38:39], -v[12:13]
	v_mul_f64 v[28:29], v[30:31], v[47:48]
	v_fma_f64 v[28:29], v[14:15], v[45:46], v[28:29]
	v_mul_f64 v[14:15], v[14:15], v[47:48]
	v_fma_f64 v[14:15], v[30:31], v[45:46], -v[14:15]
	v_mul_f64 v[30:31], v[34:35], v[40:41]
	v_fma_f64 v[30:31], v[18:19], v[38:39], v[30:31]
	v_mul_f64 v[18:19], v[18:19], v[40:41]
	v_fma_f64 v[18:19], v[34:35], v[38:39], -v[18:19]
	v_mul_f64 v[34:35], v[32:33], v[47:48]
	v_fma_f64 v[34:35], v[16:17], v[45:46], v[34:35]
	v_mul_f64 v[16:17], v[16:17], v[47:48]
	v_add_f64 v[47:48], v[8:9], -v[12:13]
	v_fma_f64 v[16:17], v[32:33], v[45:46], -v[16:17]
	v_mul_f64 v[32:33], v[36:37], v[40:41]
	v_add_f64 v[45:46], v[26:27], v[24:25]
	v_fma_f64 v[32:33], v[20:21], v[38:39], v[32:33]
	v_mul_f64 v[20:21], v[20:21], v[40:41]
	v_fma_f64 v[45:46], v[45:46], -0.5, v[62:63]
	v_fma_f64 v[20:21], v[36:37], v[38:39], -v[20:21]
	v_add_f64 v[38:39], v[70:71], v[49:50]
	v_add_f64 v[36:37], v[6:7], v[70:71]
	v_fma_f64 v[6:7], v[38:39], -0.5, v[6:7]
	v_add_f64 v[38:39], v[42:43], -v[10:11]
	v_add_f64 v[36:37], v[36:37], v[49:50]
	v_fma_f64 v[40:41], v[38:39], s[0:1], v[6:7]
	v_fma_f64 v[6:7], v[38:39], s[6:7], v[6:7]
	v_add_f64 v[38:39], v[22:23], v[42:43]
	ds_write2st64_b64 v0, v[36:37], v[40:41] offset1:2
	ds_write_b64 v0, v[6:7] offset:2048
	v_mul_u32_u24_e64 v6, 1, 24
	v_add_f64 v[38:39], v[38:39], v[10:11]
	v_add_f64 v[10:11], v[42:43], v[10:11]
	v_or_b32_e32 v6, v6, v52
	v_lshlrev_b32_e32 v6, 7, v6
	v_add3_u32 v36, 0, v6, v1
	v_mul_u32_u24_e64 v6, 2, 24
	v_or_b32_e32 v6, v6, v52
	v_lshlrev_b32_e32 v6, 7, v6
	v_add3_u32 v37, 0, v6, v1
	v_fma_f64 v[10:11], v[10:11], -0.5, v[22:23]
	v_add_f64 v[22:23], v[70:71], -v[49:50]
	v_fma_f64 v[49:50], v[47:48], s[0:1], v[45:46]
	v_fma_f64 v[45:46], v[47:48], s[6:7], v[45:46]
	v_add_f64 v[47:48], v[58:59], v[8:9]
	v_add_f64 v[8:9], v[8:9], v[12:13]
	v_mul_u32_u24_e64 v6, 3, 24
	v_or_b32_e32 v6, v6, v52
	v_lshlrev_b32_e32 v6, 7, v6
	v_fma_f64 v[42:43], v[22:23], s[6:7], v[10:11]
	v_fma_f64 v[22:23], v[22:23], s[0:1], v[10:11]
	v_add_f64 v[10:11], v[62:63], v[26:27]
	v_add_f64 v[47:48], v[47:48], v[12:13]
	v_fma_f64 v[8:9], v[8:9], -0.5, v[58:59]
	v_add_f64 v[12:13], v[26:27], -v[24:25]
	v_add_f64 v[58:59], v[14:15], -v[18:19]
	v_add3_u32 v1, 0, v6, v1
	v_add_f64 v[10:11], v[10:11], v[24:25]
	ds_write2st64_b64 v36, v[10:11], v[49:50] offset1:2
	ds_write_b64 v36, v[45:46] offset:2048
	v_fma_f64 v[24:25], v[12:13], s[6:7], v[8:9]
	v_fma_f64 v[26:27], v[12:13], s[0:1], v[8:9]
	v_add_f64 v[12:13], v[28:29], v[30:31]
	v_add_f64 v[8:9], v[64:65], v[28:29]
	v_fma_f64 v[12:13], v[12:13], -0.5, v[64:65]
	v_add_f64 v[8:9], v[8:9], v[30:31]
	v_fma_f64 v[62:63], v[58:59], s[0:1], v[12:13]
	v_fma_f64 v[12:13], v[58:59], s[6:7], v[12:13]
	v_add_f64 v[58:59], v[60:61], v[14:15]
	v_add_f64 v[14:15], v[14:15], v[18:19]
	ds_write2st64_b64 v37, v[8:9], v[62:63] offset1:2
	ds_write_b64 v37, v[12:13] offset:2048
	v_add_f64 v[58:59], v[58:59], v[18:19]
	v_fma_f64 v[14:15], v[14:15], -0.5, v[60:61]
	v_add_f64 v[18:19], v[28:29], -v[30:31]
	v_add_f64 v[60:61], v[16:17], -v[20:21]
	v_fma_f64 v[28:29], v[18:19], s[6:7], v[14:15]
	v_fma_f64 v[30:31], v[18:19], s[0:1], v[14:15]
	v_add_f64 v[18:19], v[34:35], v[32:33]
	v_add_f64 v[14:15], v[68:69], v[34:35]
	v_fma_f64 v[18:19], v[18:19], -0.5, v[68:69]
	v_add_f64 v[14:15], v[14:15], v[32:33]
	v_fma_f64 v[64:65], v[60:61], s[0:1], v[18:19]
	v_fma_f64 v[18:19], v[60:61], s[6:7], v[18:19]
	v_add_f64 v[60:61], v[66:67], v[16:17]
	v_add_f64 v[16:17], v[16:17], v[20:21]
	ds_write2st64_b64 v1, v[14:15], v[64:65] offset1:2
	ds_write_b64 v1, v[18:19] offset:2048
	s_waitcnt lgkmcnt(0)
	v_add_f64 v[60:61], v[60:61], v[20:21]
	v_fma_f64 v[16:17], v[16:17], -0.5, v[66:67]
	v_add_f64 v[20:21], v[34:35], -v[32:33]
	s_barrier
	v_fma_f64 v[32:33], v[20:21], s[6:7], v[16:17]
	v_fma_f64 v[34:35], v[20:21], s[0:1], v[16:17]
	ds_read2st64_b64 v[6:9], v2 offset1:8
	ds_read_b64 v[49:50], v5
	ds_read2st64_b64 v[10:13], v2 offset0:10 offset1:12
	ds_read2st64_b64 v[14:17], v2 offset0:18 offset1:20
	ds_read_b64 v[62:63], v3
	ds_read2st64_b64 v[18:21], v2 offset0:14 offset1:16
	ds_read_b64 v[64:65], v4
	ds_read_b64 v[66:67], v2 offset:11264
	s_waitcnt lgkmcnt(0)
	s_barrier
	ds_write2st64_b64 v0, v[38:39], v[42:43] offset1:2
	ds_write_b64 v0, v[22:23] offset:2048
	ds_write2st64_b64 v36, v[47:48], v[24:25] offset1:2
	ds_write_b64 v36, v[26:27] offset:2048
	;; [unrolled: 2-line block ×4, first 2 shown]
	v_mul_u32_u24_e32 v0, 3, v52
	v_lshlrev_b32_e32 v58, 4, v0
	s_waitcnt lgkmcnt(0)
	s_barrier
	ds_read2st64_b64 v[22:25], v2 offset1:8
	ds_read_b64 v[42:43], v5
	ds_read2st64_b64 v[26:29], v2 offset0:10 offset1:12
	ds_read2st64_b64 v[30:33], v2 offset0:18 offset1:20
	ds_read_b64 v[68:69], v3
	ds_read2st64_b64 v[34:37], v2 offset0:14 offset1:16
	ds_read_b64 v[4:5], v4
	ds_read_b64 v[70:71], v2 offset:11264
	global_load_dwordx4 v[0:3], v58, s[16:17] offset:352
	global_load_dwordx4 v[38:41], v58, s[16:17] offset:336
	;; [unrolled: 1-line block ×3, first 2 shown]
	s_mov_b32 s0, s10
	s_mov_b32 s1, s11
	s_waitcnt vmcnt(0) lgkmcnt(6)
	v_mul_f64 v[58:59], v[42:43], v[47:48]
	v_mul_f64 v[47:48], v[49:50], v[47:48]
	v_fma_f64 v[72:73], v[49:50], v[45:46], v[58:59]
	v_fma_f64 v[42:43], v[42:43], v[45:46], -v[47:48]
	s_waitcnt lgkmcnt(5)
	v_mul_f64 v[45:46], v[28:29], v[40:41]
	v_fma_f64 v[45:46], v[12:13], v[38:39], v[45:46]
	v_mul_f64 v[12:13], v[12:13], v[40:41]
	v_fma_f64 v[38:39], v[28:29], v[38:39], -v[12:13]
	s_waitcnt lgkmcnt(4)
	v_mul_f64 v[12:13], v[30:31], v[2:3]
	v_mul_f64 v[2:3], v[14:15], v[2:3]
	v_fma_f64 v[40:41], v[14:15], v[0:1], v[12:13]
	v_fma_f64 v[47:48], v[30:31], v[0:1], -v[2:3]
	v_mul_lo_u16_e32 v0, 11, v57
	v_lshrrev_b16_e32 v58, 8, v0
	v_mul_lo_u16_e32 v0, 24, v58
	v_sub_u16_e32 v0, v57, v0
	v_and_b32_e32 v61, 0xff, v0
	v_mul_u32_u24_e32 v0, 3, v61
	v_lshlrev_b32_e32 v49, 4, v0
	global_load_dwordx4 v[0:3], v49, s[16:17] offset:352
	global_load_dwordx4 v[12:15], v49, s[16:17] offset:336
	;; [unrolled: 1-line block ×3, first 2 shown]
	s_waitcnt vmcnt(0)
	v_mul_f64 v[49:50], v[24:25], v[30:31]
	v_fma_f64 v[49:50], v[8:9], v[28:29], v[49:50]
	v_mul_f64 v[8:9], v[8:9], v[30:31]
	v_fma_f64 v[8:9], v[24:25], v[28:29], -v[8:9]
	s_waitcnt lgkmcnt(2)
	v_mul_f64 v[24:25], v[34:35], v[14:15]
	v_mul_f64 v[14:15], v[18:19], v[14:15]
	v_fma_f64 v[24:25], v[18:19], v[12:13], v[24:25]
	v_fma_f64 v[28:29], v[34:35], v[12:13], -v[14:15]
	v_mul_f64 v[12:13], v[32:33], v[2:3]
	v_mul_f64 v[2:3], v[16:17], v[2:3]
	v_fma_f64 v[30:31], v[16:17], v[0:1], v[12:13]
	v_fma_f64 v[32:33], v[32:33], v[0:1], -v[2:3]
	v_mul_lo_u16_e32 v0, 11, v55
	v_lshrrev_b16_e32 v59, 8, v0
	v_mul_lo_u16_e32 v0, 24, v59
	v_sub_u16_e32 v0, v55, v0
	v_and_b32_e32 v60, 0xff, v0
	v_mul_u32_u24_e32 v0, 3, v60
	v_lshlrev_b32_e32 v34, 4, v0
	global_load_dwordx4 v[0:3], v34, s[16:17] offset:352
	global_load_dwordx4 v[12:15], v34, s[16:17] offset:336
	;; [unrolled: 1-line block ×3, first 2 shown]
	s_waitcnt vmcnt(0)
	v_mul_f64 v[34:35], v[26:27], v[18:19]
	v_fma_f64 v[34:35], v[10:11], v[16:17], v[34:35]
	v_mul_f64 v[10:11], v[10:11], v[18:19]
	v_add_f64 v[18:19], v[22:23], -v[38:39]
	v_fma_f64 v[10:11], v[26:27], v[16:17], -v[10:11]
	v_mul_f64 v[16:17], v[36:37], v[14:15]
	v_mul_f64 v[14:15], v[20:21], v[14:15]
	v_add_f64 v[26:27], v[42:43], -v[47:48]
	v_fma_f64 v[16:17], v[20:21], v[12:13], v[16:17]
	v_fma_f64 v[12:13], v[36:37], v[12:13], -v[14:15]
	s_waitcnt lgkmcnt(0)
	v_mul_f64 v[14:15], v[70:71], v[2:3]
	v_mul_f64 v[2:3], v[66:67], v[2:3]
	v_fma_f64 v[20:21], v[22:23], 2.0, -v[18:19]
	v_add_f64 v[22:23], v[72:73], -v[40:41]
	v_fma_f64 v[38:39], v[42:43], 2.0, -v[26:27]
	v_fma_f64 v[14:15], v[66:67], v[0:1], v[14:15]
	v_fma_f64 v[0:1], v[70:71], v[0:1], -v[2:3]
	v_add_f64 v[2:3], v[6:7], -v[45:46]
	v_fma_f64 v[36:37], v[72:73], 2.0, -v[22:23]
	v_add_f64 v[70:71], v[20:21], -v[38:39]
	v_add_f64 v[38:39], v[49:50], -v[30:31]
	;; [unrolled: 1-line block ×5, first 2 shown]
	v_fma_f64 v[6:7], v[6:7], 2.0, -v[2:3]
	v_add_f64 v[74:75], v[2:3], v[26:27]
	v_fma_f64 v[20:21], v[20:21], 2.0, -v[70:71]
	v_fma_f64 v[26:27], v[49:50], 2.0, -v[38:39]
	;; [unrolled: 1-line block ×5, first 2 shown]
	v_add_f64 v[66:67], v[6:7], -v[36:37]
	v_fma_f64 v[76:77], v[2:3], 2.0, -v[74:75]
	v_add_f64 v[2:3], v[62:63], -v[24:25]
	v_fma_f64 v[72:73], v[6:7], 2.0, -v[66:67]
	v_add_f64 v[6:7], v[68:69], -v[28:29]
	v_add_f64 v[30:31], v[2:3], v[30:31]
	v_fma_f64 v[24:25], v[62:63], 2.0, -v[2:3]
	v_mov_b32_e32 v62, 4
	v_mov_b32_e32 v63, 0x1000
	v_add_f64 v[32:33], v[6:7], -v[38:39]
	v_fma_f64 v[36:37], v[68:69], 2.0, -v[6:7]
	v_fma_f64 v[78:79], v[2:3], 2.0, -v[30:31]
	v_add_f64 v[2:3], v[64:65], -v[16:17]
	v_add_f64 v[26:27], v[24:25], -v[26:27]
	v_fma_f64 v[80:81], v[6:7], 2.0, -v[32:33]
	v_add_f64 v[6:7], v[4:5], -v[12:13]
	v_add_f64 v[12:13], v[34:35], -v[14:15]
	v_add_f64 v[28:29], v[36:37], -v[8:9]
	v_add_f64 v[45:46], v[2:3], v[0:1]
	v_fma_f64 v[8:9], v[64:65], 2.0, -v[2:3]
	v_fma_f64 v[24:25], v[24:25], 2.0, -v[26:27]
	;; [unrolled: 1-line block ×3, first 2 shown]
	v_add_f64 v[47:48], v[6:7], -v[12:13]
	v_fma_f64 v[68:69], v[36:37], 2.0, -v[28:29]
	v_fma_f64 v[38:39], v[2:3], 2.0, -v[45:46]
	;; [unrolled: 1-line block ×3, first 2 shown]
	v_add_f64 v[49:50], v[4:5], -v[10:11]
	v_fma_f64 v[40:41], v[6:7], 2.0, -v[47:48]
	v_add_f64 v[42:43], v[8:9], -v[14:15]
	v_fma_f64 v[36:37], v[4:5], 2.0, -v[49:50]
	v_mul_lo_u32 v4, v44, v52
	v_fma_f64 v[34:35], v[8:9], 2.0, -v[42:43]
	v_lshlrev_b32_sdwa v0, v62, v4 dst_sel:DWORD dst_unused:UNUSED_PAD src0_sel:DWORD src1_sel:BYTE_0
	v_bfe_u32 v4, v4, 8, 8
	v_lshl_or_b32 v4, v4, 4, v63
	global_load_dwordx4 v[0:3], v0, s[14:15]
	s_nop 0
	global_load_dwordx4 v[4:7], v4, s[14:15]
	s_waitcnt vmcnt(0)
	v_mul_f64 v[8:9], v[2:3], v[6:7]
	v_fma_f64 v[8:9], v[0:1], v[4:5], -v[8:9]
	v_mul_f64 v[0:1], v[0:1], v[6:7]
	v_fma_f64 v[2:3], v[2:3], v[4:5], v[0:1]
	v_mul_f64 v[0:1], v[20:21], v[2:3]
	v_mul_f64 v[2:3], v[72:73], v[2:3]
	v_fma_f64 v[0:1], v[72:73], v[8:9], v[0:1]
	v_fma_f64 v[2:3], v[20:21], v[8:9], -v[2:3]
	v_mul_lo_u32 v8, v44, v54
	v_lshlrev_b32_sdwa v4, v62, v8 dst_sel:DWORD dst_unused:UNUSED_PAD src0_sel:DWORD src1_sel:BYTE_0
	v_bfe_u32 v8, v8, 8, 8
	v_lshl_or_b32 v8, v8, 4, v63
	global_load_dwordx4 v[4:7], v4, s[14:15]
	s_nop 0
	global_load_dwordx4 v[8:11], v8, s[14:15]
	s_waitcnt vmcnt(0)
	v_mul_f64 v[12:13], v[6:7], v[10:11]
	v_fma_f64 v[12:13], v[4:5], v[8:9], -v[12:13]
	v_mul_f64 v[4:5], v[4:5], v[10:11]
	v_fma_f64 v[6:7], v[6:7], v[8:9], v[4:5]
	v_mul_f64 v[4:5], v[18:19], v[6:7]
	v_mul_f64 v[6:7], v[76:77], v[6:7]
	v_fma_f64 v[4:5], v[76:77], v[12:13], v[4:5]
	v_fma_f64 v[6:7], v[18:19], v[12:13], -v[6:7]
	v_mul_lo_u32 v12, v44, v53
	;; [unrolled: 16-line block ×4, first 2 shown]
	v_lshlrev_b32_sdwa v16, v62, v20 dst_sel:DWORD dst_unused:UNUSED_PAD src0_sel:DWORD src1_sel:BYTE_0
	v_bfe_u32 v20, v20, 8, 8
	v_lshl_or_b32 v20, v20, 4, v63
	global_load_dwordx4 v[16:19], v16, s[14:15]
	s_nop 0
	global_load_dwordx4 v[20:23], v20, s[14:15]
	s_waitcnt vmcnt(0)
	v_mul_f64 v[64:65], v[18:19], v[22:23]
	v_fma_f64 v[64:65], v[16:17], v[20:21], -v[64:65]
	v_mul_f64 v[16:17], v[16:17], v[22:23]
	v_fma_f64 v[18:19], v[18:19], v[20:21], v[16:17]
	v_add_u32_e32 v20, 24, v61
	v_mul_f64 v[16:17], v[68:69], v[18:19]
	v_mul_f64 v[18:19], v[24:25], v[18:19]
	v_fma_f64 v[16:17], v[24:25], v[64:65], v[16:17]
	v_mul_lo_u32 v24, v44, v20
	v_fma_f64 v[18:19], v[68:69], v[64:65], -v[18:19]
	v_lshlrev_b32_sdwa v20, v62, v24 dst_sel:DWORD dst_unused:UNUSED_PAD src0_sel:DWORD src1_sel:BYTE_0
	v_bfe_u32 v24, v24, 8, 8
	v_lshl_or_b32 v24, v24, 4, v63
	global_load_dwordx4 v[20:23], v20, s[14:15]
	s_nop 0
	global_load_dwordx4 v[64:67], v24, s[14:15]
	s_waitcnt vmcnt(0)
	v_mul_f64 v[24:25], v[22:23], v[66:67]
	v_fma_f64 v[24:25], v[20:21], v[64:65], -v[24:25]
	v_mul_f64 v[20:21], v[20:21], v[66:67]
	v_fma_f64 v[22:23], v[22:23], v[64:65], v[20:21]
	v_mul_f64 v[20:21], v[80:81], v[22:23]
	v_mul_f64 v[22:23], v[78:79], v[22:23]
	v_fma_f64 v[20:21], v[78:79], v[24:25], v[20:21]
	v_fma_f64 v[22:23], v[80:81], v[24:25], -v[22:23]
	v_add_u32_e32 v24, 48, v61
	v_mul_lo_u32 v24, v44, v24
	v_lshlrev_b32_sdwa v25, v62, v24 dst_sel:DWORD dst_unused:UNUSED_PAD src0_sel:DWORD src1_sel:BYTE_0
	v_bfe_u32 v24, v24, 8, 8
	v_lshl_or_b32 v24, v24, 4, v63
	global_load_dwordx4 v[64:67], v25, s[14:15]
	global_load_dwordx4 v[68:71], v24, s[14:15]
	s_waitcnt vmcnt(0)
	v_mul_f64 v[24:25], v[66:67], v[70:71]
	v_fma_f64 v[72:73], v[64:65], v[68:69], -v[24:25]
	v_mul_f64 v[24:25], v[64:65], v[70:71]
	v_fma_f64 v[64:65], v[66:67], v[68:69], v[24:25]
	v_mul_f64 v[24:25], v[28:29], v[64:65]
	v_fma_f64 v[24:25], v[26:27], v[72:73], v[24:25]
	v_mul_f64 v[26:27], v[26:27], v[64:65]
	v_fma_f64 v[26:27], v[28:29], v[72:73], -v[26:27]
	v_add_u32_e32 v28, 0x48, v61
	v_mul_lo_u32 v28, v44, v28
	v_lshlrev_b32_sdwa v29, v62, v28 dst_sel:DWORD dst_unused:UNUSED_PAD src0_sel:DWORD src1_sel:BYTE_0
	v_bfe_u32 v28, v28, 8, 8
	v_lshl_or_b32 v28, v28, 4, v63
	global_load_dwordx4 v[64:67], v29, s[14:15]
	global_load_dwordx4 v[68:71], v28, s[14:15]
	s_waitcnt vmcnt(0)
	v_mul_f64 v[28:29], v[66:67], v[70:71]
	v_fma_f64 v[72:73], v[64:65], v[68:69], -v[28:29]
	v_mul_f64 v[28:29], v[64:65], v[70:71]
	v_fma_f64 v[64:65], v[66:67], v[68:69], v[28:29]
	v_mul_f64 v[28:29], v[32:33], v[64:65]
	v_fma_f64 v[28:29], v[30:31], v[72:73], v[28:29]
	v_mul_f64 v[30:31], v[30:31], v[64:65]
	v_fma_f64 v[30:31], v[32:33], v[72:73], -v[30:31]
	v_mul_lo_u32 v32, v44, v60
	v_lshlrev_b32_sdwa v33, v62, v32 dst_sel:DWORD dst_unused:UNUSED_PAD src0_sel:DWORD src1_sel:BYTE_0
	v_bfe_u32 v32, v32, 8, 8
	v_lshl_or_b32 v32, v32, 4, v63
	global_load_dwordx4 v[64:67], v33, s[14:15]
	global_load_dwordx4 v[68:71], v32, s[14:15]
	s_waitcnt vmcnt(0)
	v_mul_f64 v[32:33], v[66:67], v[70:71]
	v_fma_f64 v[72:73], v[64:65], v[68:69], -v[32:33]
	v_mul_f64 v[32:33], v[64:65], v[70:71]
	v_fma_f64 v[64:65], v[66:67], v[68:69], v[32:33]
	v_mul_f64 v[32:33], v[36:37], v[64:65]
	v_fma_f64 v[32:33], v[34:35], v[72:73], v[32:33]
	v_mul_f64 v[34:35], v[34:35], v[64:65]
	v_fma_f64 v[34:35], v[36:37], v[72:73], -v[34:35]
	v_add_u32_e32 v36, 24, v60
	v_mul_lo_u32 v36, v44, v36
	v_lshlrev_b32_sdwa v37, v62, v36 dst_sel:DWORD dst_unused:UNUSED_PAD src0_sel:DWORD src1_sel:BYTE_0
	v_bfe_u32 v36, v36, 8, 8
	v_lshl_or_b32 v36, v36, 4, v63
	global_load_dwordx4 v[64:67], v37, s[14:15]
	global_load_dwordx4 v[68:71], v36, s[14:15]
	s_waitcnt vmcnt(0)
	v_mul_f64 v[36:37], v[66:67], v[70:71]
	v_fma_f64 v[72:73], v[64:65], v[68:69], -v[36:37]
	v_mul_f64 v[36:37], v[64:65], v[70:71]
	v_fma_f64 v[64:65], v[66:67], v[68:69], v[36:37]
	v_mul_f64 v[36:37], v[40:41], v[64:65]
	v_fma_f64 v[36:37], v[38:39], v[72:73], v[36:37]
	v_mul_f64 v[38:39], v[38:39], v[64:65]
	v_fma_f64 v[38:39], v[40:41], v[72:73], -v[38:39]
	v_add_u32_e32 v40, 48, v60
	;; [unrolled: 16-line block ×3, first 2 shown]
	v_mul_lo_u32 v44, v44, v49
	v_lshlrev_b32_sdwa v49, v62, v44 dst_sel:DWORD dst_unused:UNUSED_PAD src0_sel:DWORD src1_sel:BYTE_0
	v_bfe_u32 v44, v44, 8, 8
	v_lshl_or_b32 v44, v44, 4, v63
	global_load_dwordx4 v[64:67], v49, s[14:15]
	global_load_dwordx4 v[60:63], v44, s[14:15]
	s_waitcnt vmcnt(0)
	v_mul_f64 v[49:50], v[66:67], v[62:63]
	v_mul_f64 v[62:63], v[64:65], v[62:63]
	v_fma_f64 v[49:50], v[64:65], v[60:61], -v[49:50]
	v_fma_f64 v[62:63], v[66:67], v[60:61], v[62:63]
	v_mul_f64 v[60:61], v[47:48], v[62:63]
	v_fma_f64 v[60:61], v[45:46], v[49:50], v[60:61]
	v_mul_f64 v[44:45], v[45:46], v[62:63]
	v_fma_f64 v[62:63], v[47:48], v[49:50], -v[44:45]
	v_mul_lo_u32 v44, s4, v51
	v_mul_lo_u32 v45, s12, v52
	s_lshl_b32 s4, s13, 4
	v_add_lshl_u32 v45, v44, v45, 4
	v_cndmask_b32_e32 v45, -1, v45, vcc
	buffer_store_dwordx4 v[0:3], v45, s[0:3], s4 offen
	v_mul_lo_u32 v0, s12, v54
	v_add_lshl_u32 v0, v44, v0, 4
	v_cndmask_b32_e32 v0, -1, v0, vcc
	buffer_store_dwordx4 v[4:7], v0, s[0:3], s4 offen
	v_mul_lo_u32 v0, s12, v53
	;; [unrolled: 4-line block ×3, first 2 shown]
	v_add_lshl_u32 v0, v44, v0, 4
	v_cndmask_b32_e32 v0, -1, v0, vcc
	buffer_store_dwordx4 v[12:15], v0, s[0:3], s4 offen
	v_mad_u32_u24 v0, v58, s5, v57
	v_mul_lo_u32 v1, s12, v0
	v_add_lshl_u32 v1, v44, v1, 4
	v_cndmask_b32_e32 v1, -1, v1, vcc
	buffer_store_dwordx4 v[16:19], v1, s[0:3], s4 offen
	v_add_u32_e32 v1, 24, v0
	v_mul_lo_u32 v1, s12, v1
	v_add_lshl_u32 v1, v44, v1, 4
	v_cndmask_b32_e32 v1, -1, v1, vcc
	buffer_store_dwordx4 v[20:23], v1, s[0:3], s4 offen
	v_add_u32_e32 v1, 48, v0
	v_add_u32_e32 v0, 0x48, v0
	v_mul_lo_u32 v1, s12, v1
	v_mul_lo_u32 v0, s12, v0
	v_add_lshl_u32 v1, v44, v1, 4
	v_add_lshl_u32 v0, v44, v0, 4
	v_cndmask_b32_e32 v1, -1, v1, vcc
	v_cndmask_b32_e32 v0, -1, v0, vcc
	buffer_store_dwordx4 v[24:27], v1, s[0:3], s4 offen
	buffer_store_dwordx4 v[28:31], v0, s[0:3], s4 offen
	v_mad_u32_u24 v0, v59, s5, v55
	v_mul_lo_u32 v1, s12, v0
	v_add_lshl_u32 v1, v44, v1, 4
	v_cndmask_b32_e32 v1, -1, v1, vcc
	buffer_store_dwordx4 v[32:35], v1, s[0:3], s4 offen
	v_add_u32_e32 v1, 24, v0
	v_mul_lo_u32 v1, s12, v1
	v_add_lshl_u32 v1, v44, v1, 4
	v_cndmask_b32_e32 v1, -1, v1, vcc
	buffer_store_dwordx4 v[36:39], v1, s[0:3], s4 offen
	v_add_u32_e32 v1, 48, v0
	v_add_u32_e32 v0, 0x48, v0
	v_mul_lo_u32 v1, s12, v1
	v_mul_lo_u32 v0, s12, v0
	v_add_lshl_u32 v1, v44, v1, 4
	v_add_lshl_u32 v0, v44, v0, 4
	v_cndmask_b32_e32 v1, -1, v1, vcc
	v_cndmask_b32_e32 v0, -1, v0, vcc
	buffer_store_dwordx4 v[40:43], v1, s[0:3], s4 offen
	buffer_store_dwordx4 v[60:63], v0, s[0:3], s4 offen
	s_endpgm
	.section	.rodata,"a",@progbits
	.p2align	6, 0x0
	.amdhsa_kernel fft_rtc_back_len96_factors_4_2_3_4_wgs_128_tpt_8_halfLds_dim2_dp_op_CI_CI_sbcc_twdbase8_2step_dirReg_intrinsicReadWrite
		.amdhsa_group_segment_fixed_size 0
		.amdhsa_private_segment_fixed_size 0
		.amdhsa_kernarg_size 104
		.amdhsa_user_sgpr_count 6
		.amdhsa_user_sgpr_private_segment_buffer 1
		.amdhsa_user_sgpr_dispatch_ptr 0
		.amdhsa_user_sgpr_queue_ptr 0
		.amdhsa_user_sgpr_kernarg_segment_ptr 1
		.amdhsa_user_sgpr_dispatch_id 0
		.amdhsa_user_sgpr_flat_scratch_init 0
		.amdhsa_user_sgpr_private_segment_size 0
		.amdhsa_uses_dynamic_stack 0
		.amdhsa_system_sgpr_private_segment_wavefront_offset 0
		.amdhsa_system_sgpr_workgroup_id_x 1
		.amdhsa_system_sgpr_workgroup_id_y 0
		.amdhsa_system_sgpr_workgroup_id_z 0
		.amdhsa_system_sgpr_workgroup_info 0
		.amdhsa_system_vgpr_workitem_id 0
		.amdhsa_next_free_vgpr 82
		.amdhsa_next_free_sgpr 30
		.amdhsa_reserve_vcc 1
		.amdhsa_reserve_flat_scratch 0
		.amdhsa_float_round_mode_32 0
		.amdhsa_float_round_mode_16_64 0
		.amdhsa_float_denorm_mode_32 3
		.amdhsa_float_denorm_mode_16_64 3
		.amdhsa_dx10_clamp 1
		.amdhsa_ieee_mode 1
		.amdhsa_fp16_overflow 0
		.amdhsa_exception_fp_ieee_invalid_op 0
		.amdhsa_exception_fp_denorm_src 0
		.amdhsa_exception_fp_ieee_div_zero 0
		.amdhsa_exception_fp_ieee_overflow 0
		.amdhsa_exception_fp_ieee_underflow 0
		.amdhsa_exception_fp_ieee_inexact 0
		.amdhsa_exception_int_div_zero 0
	.end_amdhsa_kernel
	.text
.Lfunc_end0:
	.size	fft_rtc_back_len96_factors_4_2_3_4_wgs_128_tpt_8_halfLds_dim2_dp_op_CI_CI_sbcc_twdbase8_2step_dirReg_intrinsicReadWrite, .Lfunc_end0-fft_rtc_back_len96_factors_4_2_3_4_wgs_128_tpt_8_halfLds_dim2_dp_op_CI_CI_sbcc_twdbase8_2step_dirReg_intrinsicReadWrite
                                        ; -- End function
	.section	.AMDGPU.csdata,"",@progbits
; Kernel info:
; codeLenInByte = 6168
; NumSgprs: 34
; NumVgprs: 82
; ScratchSize: 0
; MemoryBound: 0
; FloatMode: 240
; IeeeMode: 1
; LDSByteSize: 0 bytes/workgroup (compile time only)
; SGPRBlocks: 4
; VGPRBlocks: 20
; NumSGPRsForWavesPerEU: 34
; NumVGPRsForWavesPerEU: 82
; Occupancy: 3
; WaveLimiterHint : 0
; COMPUTE_PGM_RSRC2:SCRATCH_EN: 0
; COMPUTE_PGM_RSRC2:USER_SGPR: 6
; COMPUTE_PGM_RSRC2:TRAP_HANDLER: 0
; COMPUTE_PGM_RSRC2:TGID_X_EN: 1
; COMPUTE_PGM_RSRC2:TGID_Y_EN: 0
; COMPUTE_PGM_RSRC2:TGID_Z_EN: 0
; COMPUTE_PGM_RSRC2:TIDIG_COMP_CNT: 0
	.type	__hip_cuid_250aaaf21daa7ece,@object ; @__hip_cuid_250aaaf21daa7ece
	.section	.bss,"aw",@nobits
	.globl	__hip_cuid_250aaaf21daa7ece
__hip_cuid_250aaaf21daa7ece:
	.byte	0                               ; 0x0
	.size	__hip_cuid_250aaaf21daa7ece, 1

	.ident	"AMD clang version 19.0.0git (https://github.com/RadeonOpenCompute/llvm-project roc-6.4.0 25133 c7fe45cf4b819c5991fe208aaa96edf142730f1d)"
	.section	".note.GNU-stack","",@progbits
	.addrsig
	.addrsig_sym __hip_cuid_250aaaf21daa7ece
	.amdgpu_metadata
---
amdhsa.kernels:
  - .args:
      - .actual_access:  read_only
        .address_space:  global
        .offset:         0
        .size:           8
        .value_kind:     global_buffer
      - .address_space:  global
        .offset:         8
        .size:           8
        .value_kind:     global_buffer
      - .actual_access:  read_only
        .address_space:  global
        .offset:         16
        .size:           8
        .value_kind:     global_buffer
      - .actual_access:  read_only
        .address_space:  global
        .offset:         24
        .size:           8
        .value_kind:     global_buffer
      - .actual_access:  read_only
        .address_space:  global
        .offset:         32
        .size:           8
        .value_kind:     global_buffer
      - .offset:         40
        .size:           8
        .value_kind:     by_value
      - .actual_access:  read_only
        .address_space:  global
        .offset:         48
        .size:           8
        .value_kind:     global_buffer
      - .actual_access:  read_only
        .address_space:  global
        .offset:         56
        .size:           8
        .value_kind:     global_buffer
      - .offset:         64
        .size:           4
        .value_kind:     by_value
      - .actual_access:  read_only
        .address_space:  global
        .offset:         72
        .size:           8
        .value_kind:     global_buffer
      - .actual_access:  read_only
        .address_space:  global
        .offset:         80
        .size:           8
        .value_kind:     global_buffer
      - .address_space:  global
        .offset:         88
        .size:           8
        .value_kind:     global_buffer
      - .address_space:  global
        .offset:         96
        .size:           8
        .value_kind:     global_buffer
    .group_segment_fixed_size: 0
    .kernarg_segment_align: 8
    .kernarg_segment_size: 104
    .language:       OpenCL C
    .language_version:
      - 2
      - 0
    .max_flat_workgroup_size: 128
    .name:           fft_rtc_back_len96_factors_4_2_3_4_wgs_128_tpt_8_halfLds_dim2_dp_op_CI_CI_sbcc_twdbase8_2step_dirReg_intrinsicReadWrite
    .private_segment_fixed_size: 0
    .sgpr_count:     34
    .sgpr_spill_count: 0
    .symbol:         fft_rtc_back_len96_factors_4_2_3_4_wgs_128_tpt_8_halfLds_dim2_dp_op_CI_CI_sbcc_twdbase8_2step_dirReg_intrinsicReadWrite.kd
    .uniform_work_group_size: 1
    .uses_dynamic_stack: false
    .vgpr_count:     82
    .vgpr_spill_count: 0
    .wavefront_size: 64
amdhsa.target:   amdgcn-amd-amdhsa--gfx906
amdhsa.version:
  - 1
  - 2
...

	.end_amdgpu_metadata
